;; amdgpu-corpus repo=ROCm/rocFFT kind=compiled arch=gfx1201 opt=O3
	.text
	.amdgcn_target "amdgcn-amd-amdhsa--gfx1201"
	.amdhsa_code_object_version 6
	.protected	fft_rtc_back_len39_factors_13_3_wgs_247_tpt_13_halfLds_half_op_CI_CI_unitstride_sbrr_dirReg ; -- Begin function fft_rtc_back_len39_factors_13_3_wgs_247_tpt_13_halfLds_half_op_CI_CI_unitstride_sbrr_dirReg
	.globl	fft_rtc_back_len39_factors_13_3_wgs_247_tpt_13_halfLds_half_op_CI_CI_unitstride_sbrr_dirReg
	.p2align	8
	.type	fft_rtc_back_len39_factors_13_3_wgs_247_tpt_13_halfLds_half_op_CI_CI_unitstride_sbrr_dirReg,@function
fft_rtc_back_len39_factors_13_3_wgs_247_tpt_13_halfLds_half_op_CI_CI_unitstride_sbrr_dirReg: ; @fft_rtc_back_len39_factors_13_3_wgs_247_tpt_13_halfLds_half_op_CI_CI_unitstride_sbrr_dirReg
; %bb.0:
	s_load_b128 s[8:11], s[0:1], 0x0
	v_mul_u32_u24_e32 v1, 0x13b2, v0
	s_clause 0x1
	s_load_b128 s[4:7], s[0:1], 0x58
	s_load_b128 s[12:15], s[0:1], 0x18
	v_mov_b32_e32 v5, 0
	v_mov_b32_e32 v9, 0
	;; [unrolled: 1-line block ×3, first 2 shown]
	v_lshrrev_b32_e32 v1, 16, v1
	s_delay_alu instid0(VALU_DEP_1) | instskip(NEXT) | instid1(VALU_DEP_4)
	v_mad_co_u64_u32 v[7:8], null, ttmp9, 19, v[1:2]
	v_dual_mov_b32 v8, v5 :: v_dual_mov_b32 v1, v9
	s_delay_alu instid0(VALU_DEP_2) | instskip(NEXT) | instid1(VALU_DEP_2)
	v_dual_mov_b32 v2, v10 :: v_dual_mov_b32 v3, v7
	v_mov_b32_e32 v4, v8
	s_wait_kmcnt 0x0
	v_cmp_lt_u64_e64 s2, s[10:11], 2
	s_delay_alu instid0(VALU_DEP_1)
	s_and_b32 vcc_lo, exec_lo, s2
	s_cbranch_vccnz .LBB0_8
; %bb.1:
	s_load_b64 s[2:3], s[0:1], 0x10
	v_dual_mov_b32 v9, 0 :: v_dual_mov_b32 v12, v8
	v_dual_mov_b32 v10, 0 :: v_dual_mov_b32 v11, v7
	s_delay_alu instid0(VALU_DEP_2) | instskip(SKIP_2) | instid1(VALU_DEP_2)
	v_mov_b32_e32 v1, v9
	s_add_nc_u64 s[16:17], s[14:15], 8
	s_add_nc_u64 s[18:19], s[12:13], 8
	v_mov_b32_e32 v2, v10
	s_mov_b64 s[20:21], 1
	s_wait_kmcnt 0x0
	s_add_nc_u64 s[22:23], s[2:3], 8
	s_mov_b32 s3, 0
.LBB0_2:                                ; =>This Inner Loop Header: Depth=1
	s_load_b64 s[24:25], s[22:23], 0x0
                                        ; implicit-def: $vgpr3_vgpr4
	s_mov_b32 s2, exec_lo
	s_wait_kmcnt 0x0
	v_or_b32_e32 v6, s25, v12
	s_delay_alu instid0(VALU_DEP_1)
	v_cmpx_ne_u64_e32 0, v[5:6]
	s_wait_alu 0xfffe
	s_xor_b32 s26, exec_lo, s2
	s_cbranch_execz .LBB0_4
; %bb.3:                                ;   in Loop: Header=BB0_2 Depth=1
	s_cvt_f32_u32 s2, s24
	s_cvt_f32_u32 s27, s25
	s_sub_nc_u64 s[30:31], 0, s[24:25]
	s_wait_alu 0xfffe
	s_delay_alu instid0(SALU_CYCLE_1) | instskip(SKIP_1) | instid1(SALU_CYCLE_2)
	s_fmamk_f32 s2, s27, 0x4f800000, s2
	s_wait_alu 0xfffe
	v_s_rcp_f32 s2, s2
	s_delay_alu instid0(TRANS32_DEP_1) | instskip(SKIP_1) | instid1(SALU_CYCLE_2)
	s_mul_f32 s2, s2, 0x5f7ffffc
	s_wait_alu 0xfffe
	s_mul_f32 s27, s2, 0x2f800000
	s_wait_alu 0xfffe
	s_delay_alu instid0(SALU_CYCLE_2) | instskip(SKIP_1) | instid1(SALU_CYCLE_2)
	s_trunc_f32 s27, s27
	s_wait_alu 0xfffe
	s_fmamk_f32 s2, s27, 0xcf800000, s2
	s_cvt_u32_f32 s29, s27
	s_wait_alu 0xfffe
	s_delay_alu instid0(SALU_CYCLE_1) | instskip(SKIP_1) | instid1(SALU_CYCLE_2)
	s_cvt_u32_f32 s28, s2
	s_wait_alu 0xfffe
	s_mul_u64 s[34:35], s[30:31], s[28:29]
	s_wait_alu 0xfffe
	s_mul_hi_u32 s37, s28, s35
	s_mul_i32 s36, s28, s35
	s_mul_hi_u32 s2, s28, s34
	s_mul_i32 s33, s29, s34
	s_wait_alu 0xfffe
	s_add_nc_u64 s[36:37], s[2:3], s[36:37]
	s_mul_hi_u32 s27, s29, s34
	s_mul_hi_u32 s38, s29, s35
	s_add_co_u32 s2, s36, s33
	s_wait_alu 0xfffe
	s_add_co_ci_u32 s2, s37, s27
	s_mul_i32 s34, s29, s35
	s_add_co_ci_u32 s35, s38, 0
	s_wait_alu 0xfffe
	s_add_nc_u64 s[34:35], s[2:3], s[34:35]
	s_wait_alu 0xfffe
	v_add_co_u32 v3, s2, s28, s34
	s_delay_alu instid0(VALU_DEP_1) | instskip(SKIP_1) | instid1(VALU_DEP_1)
	s_cmp_lg_u32 s2, 0
	s_add_co_ci_u32 s29, s29, s35
	v_readfirstlane_b32 s28, v3
	s_wait_alu 0xfffe
	s_delay_alu instid0(VALU_DEP_1)
	s_mul_u64 s[30:31], s[30:31], s[28:29]
	s_wait_alu 0xfffe
	s_mul_hi_u32 s35, s28, s31
	s_mul_i32 s34, s28, s31
	s_mul_hi_u32 s2, s28, s30
	s_mul_i32 s33, s29, s30
	s_wait_alu 0xfffe
	s_add_nc_u64 s[34:35], s[2:3], s[34:35]
	s_mul_hi_u32 s27, s29, s30
	s_mul_hi_u32 s28, s29, s31
	s_wait_alu 0xfffe
	s_add_co_u32 s2, s34, s33
	s_add_co_ci_u32 s2, s35, s27
	s_mul_i32 s30, s29, s31
	s_add_co_ci_u32 s31, s28, 0
	s_wait_alu 0xfffe
	s_add_nc_u64 s[30:31], s[2:3], s[30:31]
	s_wait_alu 0xfffe
	v_add_co_u32 v6, s2, v3, s30
	s_delay_alu instid0(VALU_DEP_1) | instskip(SKIP_1) | instid1(VALU_DEP_1)
	s_cmp_lg_u32 s2, 0
	s_add_co_ci_u32 s2, s29, s31
	v_mul_hi_u32 v8, v11, v6
	s_wait_alu 0xfffe
	v_mad_co_u64_u32 v[3:4], null, v11, s2, 0
	v_mad_co_u64_u32 v[13:14], null, v12, v6, 0
	;; [unrolled: 1-line block ×3, first 2 shown]
	s_delay_alu instid0(VALU_DEP_3) | instskip(SKIP_1) | instid1(VALU_DEP_4)
	v_add_co_u32 v3, vcc_lo, v8, v3
	s_wait_alu 0xfffd
	v_add_co_ci_u32_e32 v4, vcc_lo, 0, v4, vcc_lo
	s_delay_alu instid0(VALU_DEP_2) | instskip(SKIP_1) | instid1(VALU_DEP_2)
	v_add_co_u32 v3, vcc_lo, v3, v13
	s_wait_alu 0xfffd
	v_add_co_ci_u32_e32 v3, vcc_lo, v4, v14, vcc_lo
	s_wait_alu 0xfffd
	v_add_co_ci_u32_e32 v4, vcc_lo, 0, v16, vcc_lo
	s_delay_alu instid0(VALU_DEP_2) | instskip(SKIP_1) | instid1(VALU_DEP_2)
	v_add_co_u32 v6, vcc_lo, v3, v15
	s_wait_alu 0xfffd
	v_add_co_ci_u32_e32 v8, vcc_lo, 0, v4, vcc_lo
	s_delay_alu instid0(VALU_DEP_2) | instskip(SKIP_1) | instid1(VALU_DEP_3)
	v_mul_lo_u32 v13, s25, v6
	v_mad_co_u64_u32 v[3:4], null, s24, v6, 0
	v_mul_lo_u32 v14, s24, v8
	s_delay_alu instid0(VALU_DEP_2) | instskip(NEXT) | instid1(VALU_DEP_2)
	v_sub_co_u32 v3, vcc_lo, v11, v3
	v_add3_u32 v4, v4, v14, v13
	s_delay_alu instid0(VALU_DEP_1) | instskip(SKIP_1) | instid1(VALU_DEP_1)
	v_sub_nc_u32_e32 v13, v12, v4
	s_wait_alu 0xfffd
	v_subrev_co_ci_u32_e64 v13, s2, s25, v13, vcc_lo
	v_add_co_u32 v14, s2, v6, 2
	s_wait_alu 0xf1ff
	v_add_co_ci_u32_e64 v15, s2, 0, v8, s2
	v_sub_co_u32 v16, s2, v3, s24
	v_sub_co_ci_u32_e32 v4, vcc_lo, v12, v4, vcc_lo
	s_wait_alu 0xf1ff
	v_subrev_co_ci_u32_e64 v13, s2, 0, v13, s2
	s_delay_alu instid0(VALU_DEP_3) | instskip(NEXT) | instid1(VALU_DEP_3)
	v_cmp_le_u32_e32 vcc_lo, s24, v16
	v_cmp_eq_u32_e64 s2, s25, v4
	s_wait_alu 0xfffd
	v_cndmask_b32_e64 v16, 0, -1, vcc_lo
	v_cmp_le_u32_e32 vcc_lo, s25, v13
	s_wait_alu 0xfffd
	v_cndmask_b32_e64 v17, 0, -1, vcc_lo
	v_cmp_le_u32_e32 vcc_lo, s24, v3
	;; [unrolled: 3-line block ×3, first 2 shown]
	s_wait_alu 0xfffd
	v_cndmask_b32_e64 v18, 0, -1, vcc_lo
	v_cmp_eq_u32_e32 vcc_lo, s25, v13
	s_wait_alu 0xf1ff
	s_delay_alu instid0(VALU_DEP_2)
	v_cndmask_b32_e64 v3, v18, v3, s2
	s_wait_alu 0xfffd
	v_cndmask_b32_e32 v13, v17, v16, vcc_lo
	v_add_co_u32 v16, vcc_lo, v6, 1
	s_wait_alu 0xfffd
	v_add_co_ci_u32_e32 v17, vcc_lo, 0, v8, vcc_lo
	s_delay_alu instid0(VALU_DEP_3) | instskip(SKIP_1) | instid1(VALU_DEP_2)
	v_cmp_ne_u32_e32 vcc_lo, 0, v13
	s_wait_alu 0xfffd
	v_dual_cndmask_b32 v4, v17, v15 :: v_dual_cndmask_b32 v13, v16, v14
	v_cmp_ne_u32_e32 vcc_lo, 0, v3
	s_wait_alu 0xfffd
	s_delay_alu instid0(VALU_DEP_2)
	v_dual_cndmask_b32 v4, v8, v4 :: v_dual_cndmask_b32 v3, v6, v13
.LBB0_4:                                ;   in Loop: Header=BB0_2 Depth=1
	s_wait_alu 0xfffe
	s_and_not1_saveexec_b32 s2, s26
	s_cbranch_execz .LBB0_6
; %bb.5:                                ;   in Loop: Header=BB0_2 Depth=1
	v_cvt_f32_u32_e32 v3, s24
	s_sub_co_i32 s26, 0, s24
	s_delay_alu instid0(VALU_DEP_1) | instskip(NEXT) | instid1(TRANS32_DEP_1)
	v_rcp_iflag_f32_e32 v3, v3
	v_mul_f32_e32 v3, 0x4f7ffffe, v3
	s_delay_alu instid0(VALU_DEP_1) | instskip(SKIP_1) | instid1(VALU_DEP_1)
	v_cvt_u32_f32_e32 v3, v3
	s_wait_alu 0xfffe
	v_mul_lo_u32 v4, s26, v3
	s_delay_alu instid0(VALU_DEP_1) | instskip(NEXT) | instid1(VALU_DEP_1)
	v_mul_hi_u32 v4, v3, v4
	v_add_nc_u32_e32 v3, v3, v4
	s_delay_alu instid0(VALU_DEP_1) | instskip(NEXT) | instid1(VALU_DEP_1)
	v_mul_hi_u32 v3, v11, v3
	v_mul_lo_u32 v4, v3, s24
	v_add_nc_u32_e32 v6, 1, v3
	s_delay_alu instid0(VALU_DEP_2) | instskip(NEXT) | instid1(VALU_DEP_1)
	v_sub_nc_u32_e32 v4, v11, v4
	v_subrev_nc_u32_e32 v8, s24, v4
	v_cmp_le_u32_e32 vcc_lo, s24, v4
	s_wait_alu 0xfffd
	s_delay_alu instid0(VALU_DEP_2) | instskip(NEXT) | instid1(VALU_DEP_1)
	v_dual_cndmask_b32 v4, v4, v8 :: v_dual_cndmask_b32 v3, v3, v6
	v_cmp_le_u32_e32 vcc_lo, s24, v4
	v_mov_b32_e32 v4, v5
	s_delay_alu instid0(VALU_DEP_3) | instskip(SKIP_1) | instid1(VALU_DEP_1)
	v_add_nc_u32_e32 v6, 1, v3
	s_wait_alu 0xfffd
	v_cndmask_b32_e32 v3, v3, v6, vcc_lo
.LBB0_6:                                ;   in Loop: Header=BB0_2 Depth=1
	s_wait_alu 0xfffe
	s_or_b32 exec_lo, exec_lo, s2
	v_mul_lo_u32 v6, v4, s24
	s_delay_alu instid0(VALU_DEP_2)
	v_mul_lo_u32 v8, v3, s25
	s_load_b64 s[26:27], s[18:19], 0x0
	v_mad_co_u64_u32 v[13:14], null, v3, s24, 0
	s_load_b64 s[24:25], s[16:17], 0x0
	s_add_nc_u64 s[20:21], s[20:21], 1
	s_add_nc_u64 s[16:17], s[16:17], 8
	s_wait_alu 0xfffe
	v_cmp_ge_u64_e64 s2, s[20:21], s[10:11]
	s_add_nc_u64 s[18:19], s[18:19], 8
	s_add_nc_u64 s[22:23], s[22:23], 8
	v_add3_u32 v6, v14, v8, v6
	v_sub_co_u32 v8, vcc_lo, v11, v13
	s_wait_alu 0xfffd
	s_delay_alu instid0(VALU_DEP_2) | instskip(SKIP_2) | instid1(VALU_DEP_1)
	v_sub_co_ci_u32_e32 v6, vcc_lo, v12, v6, vcc_lo
	s_and_b32 vcc_lo, exec_lo, s2
	s_wait_kmcnt 0x0
	v_mul_lo_u32 v11, s26, v6
	v_mul_lo_u32 v12, s27, v8
	v_mad_co_u64_u32 v[9:10], null, s26, v8, v[9:10]
	v_mul_lo_u32 v6, s24, v6
	v_mul_lo_u32 v13, s25, v8
	v_mad_co_u64_u32 v[1:2], null, s24, v8, v[1:2]
	s_delay_alu instid0(VALU_DEP_4) | instskip(NEXT) | instid1(VALU_DEP_2)
	v_add3_u32 v10, v12, v10, v11
	v_add3_u32 v2, v13, v2, v6
	s_wait_alu 0xfffe
	s_cbranch_vccnz .LBB0_8
; %bb.7:                                ;   in Loop: Header=BB0_2 Depth=1
	v_dual_mov_b32 v12, v4 :: v_dual_mov_b32 v11, v3
	s_branch .LBB0_2
.LBB0_8:
	s_load_b64 s[0:1], s[0:1], 0x28
	s_lshl_b64 s[10:11], s[10:11], 3
	v_mul_hi_u32 v5, 0x13b13b14, v0
	s_wait_alu 0xfffe
	s_add_nc_u64 s[2:3], s[14:15], s[10:11]
	v_dual_mov_b32 v8, 0 :: v_dual_mov_b32 v27, 0
	s_load_b64 s[2:3], s[2:3], 0x0
	v_mov_b32_e32 v6, 0
                                        ; implicit-def: $vgpr34
                                        ; implicit-def: $vgpr16
                                        ; implicit-def: $vgpr32
                                        ; implicit-def: $vgpr17
                                        ; implicit-def: $vgpr31
                                        ; implicit-def: $vgpr19
                                        ; implicit-def: $vgpr29
                                        ; implicit-def: $vgpr20
                                        ; implicit-def: $vgpr26
                                        ; implicit-def: $vgpr21
                                        ; implicit-def: $vgpr18
                                        ; implicit-def: $vgpr22
                                        ; implicit-def: $vgpr33
                                        ; implicit-def: $vgpr11
                                        ; implicit-def: $vgpr30
                                        ; implicit-def: $vgpr12
                                        ; implicit-def: $vgpr28
                                        ; implicit-def: $vgpr13
                                        ; implicit-def: $vgpr25
                                        ; implicit-def: $vgpr14
                                        ; implicit-def: $vgpr24
                                        ; implicit-def: $vgpr15
                                        ; implicit-def: $vgpr23
	s_delay_alu instid0(VALU_DEP_3) | instskip(NEXT) | instid1(VALU_DEP_1)
	v_mul_u32_u24_e32 v5, 13, v5
	v_sub_nc_u32_e32 v5, v0, v5
                                        ; implicit-def: $vgpr0
	s_wait_kmcnt 0x0
	v_cmp_gt_u64_e32 vcc_lo, s[0:1], v[3:4]
	s_and_saveexec_b32 s1, vcc_lo
	s_cbranch_execz .LBB0_12
; %bb.9:
	v_cmp_gt_u32_e64 s0, 3, v5
	v_dual_mov_b32 v27, 0 :: v_dual_mov_b32 v8, 0
                                        ; implicit-def: $vgpr23
                                        ; implicit-def: $vgpr15
                                        ; implicit-def: $vgpr24
                                        ; implicit-def: $vgpr14
                                        ; implicit-def: $vgpr25
                                        ; implicit-def: $vgpr13
                                        ; implicit-def: $vgpr28
                                        ; implicit-def: $vgpr12
                                        ; implicit-def: $vgpr30
                                        ; implicit-def: $vgpr11
                                        ; implicit-def: $vgpr33
                                        ; implicit-def: $vgpr0
                                        ; implicit-def: $vgpr22
                                        ; implicit-def: $vgpr18
                                        ; implicit-def: $vgpr21
                                        ; implicit-def: $vgpr26
                                        ; implicit-def: $vgpr20
                                        ; implicit-def: $vgpr29
                                        ; implicit-def: $vgpr19
                                        ; implicit-def: $vgpr31
                                        ; implicit-def: $vgpr17
                                        ; implicit-def: $vgpr32
                                        ; implicit-def: $vgpr16
                                        ; implicit-def: $vgpr34
	s_delay_alu instid0(VALU_DEP_2)
	s_and_saveexec_b32 s14, s0
	s_cbranch_execz .LBB0_11
; %bb.10:
	s_add_nc_u64 s[10:11], s[12:13], s[10:11]
	v_lshlrev_b64_e32 v[8:9], 2, v[9:10]
	s_load_b64 s[10:11], s[10:11], 0x0
	s_wait_kmcnt 0x0
	v_mul_lo_u32 v0, s11, v3
	v_mul_lo_u32 v6, s10, v4
	v_mad_co_u64_u32 v[11:12], null, s10, v3, 0
	s_delay_alu instid0(VALU_DEP_1) | instskip(SKIP_1) | instid1(VALU_DEP_2)
	v_add3_u32 v12, v12, v6, v0
	v_mov_b32_e32 v6, 0
	v_lshlrev_b64_e32 v[11:12], 2, v[11:12]
	s_delay_alu instid0(VALU_DEP_1) | instskip(SKIP_1) | instid1(VALU_DEP_2)
	v_add_co_u32 v0, s0, s4, v11
	s_wait_alu 0xf1ff
	v_add_co_ci_u32_e64 v12, s0, s5, v12, s0
	v_lshlrev_b64_e32 v[10:11], 2, v[5:6]
	s_delay_alu instid0(VALU_DEP_3) | instskip(SKIP_1) | instid1(VALU_DEP_3)
	v_add_co_u32 v0, s0, v0, v8
	s_wait_alu 0xf1ff
	v_add_co_ci_u32_e64 v6, s0, v12, v9, s0
	s_delay_alu instid0(VALU_DEP_2) | instskip(SKIP_1) | instid1(VALU_DEP_2)
	v_add_co_u32 v8, s0, v0, v10
	s_wait_alu 0xf1ff
	v_add_co_ci_u32_e64 v9, s0, v6, v11, s0
	s_clause 0xc
	global_load_b32 v27, v[8:9], off
	global_load_b32 v16, v[8:9], off offset:12
	global_load_b32 v17, v[8:9], off offset:24
	;; [unrolled: 1-line block ×12, first 2 shown]
	s_wait_loadcnt 0xc
	v_lshrrev_b32_e32 v8, 16, v27
	s_wait_loadcnt 0xb
	v_lshrrev_b32_e32 v34, 16, v16
	;; [unrolled: 2-line block ×13, first 2 shown]
.LBB0_11:
	s_or_b32 exec_lo, exec_lo, s14
	v_mov_b32_e32 v6, v5
.LBB0_12:
	s_wait_alu 0xfffe
	s_or_b32 exec_lo, exec_lo, s1
	v_mul_hi_u32 v9, 0xaf286bcb, v7
	v_cmp_gt_u32_e64 s0, 3, v5
	s_delay_alu instid0(VALU_DEP_2) | instskip(NEXT) | instid1(VALU_DEP_1)
	v_sub_nc_u32_e32 v10, v7, v9
	v_lshrrev_b32_e32 v10, 1, v10
	s_delay_alu instid0(VALU_DEP_1) | instskip(NEXT) | instid1(VALU_DEP_1)
	v_add_nc_u32_e32 v9, v10, v9
	v_lshrrev_b32_e32 v9, 4, v9
	s_delay_alu instid0(VALU_DEP_1) | instskip(NEXT) | instid1(VALU_DEP_1)
	v_mul_lo_u32 v9, v9, 19
	v_sub_nc_u32_e32 v7, v7, v9
	s_delay_alu instid0(VALU_DEP_1) | instskip(NEXT) | instid1(VALU_DEP_1)
	v_mul_u32_u24_e32 v7, 39, v7
	v_lshlrev_b32_e32 v9, 1, v7
	s_and_saveexec_b32 s1, s0
	s_cbranch_execz .LBB0_14
; %bb.13:
	v_sub_f16_e32 v35, v34, v0
	v_add_f16_e32 v10, v16, v33
	v_sub_f16_e32 v37, v32, v11
	v_add_f16_e32 v7, v27, v16
	v_add_f16_e32 v36, v17, v30
	v_pk_mul_f16 v47, 0xba95b770, v35 op_sel_hi:[1,0]
	v_sub_f16_e32 v39, v31, v12
	v_pk_mul_f16 v48, 0xbb7bba95, v37 op_sel_hi:[1,0]
	v_add_f16_e32 v7, v7, v17
	v_add_f16_e32 v38, v19, v28
	v_pk_fma_f16 v56, 0x388b3b15, v10, v47 op_sel_hi:[1,0,1]
	v_sub_f16_e32 v41, v29, v13
	v_pk_mul_f16 v49, 0xb3a8bbf1, v39 op_sel_hi:[1,0]
	v_pk_fma_f16 v59, 0xb5ac388b, v36, v48 op_sel_hi:[1,0,1]
	v_add_f16_e32 v7, v7, v19
	v_pk_add_f16 v56, v27, v56 op_sel_hi:[0,1]
	v_add_f16_e32 v40, v20, v25
	v_pk_mul_f16 v50, 0x394ebb7b, v41 op_sel_hi:[1,0]
	v_pk_mul_f16 v53, 0xbb7bbbf1, v35 op_sel_hi:[1,0]
	;; [unrolled: 1-line block ×3, first 2 shown]
	v_pk_fma_f16 v35, 0xbbc42fb7, v38, v49 op_sel_hi:[1,0,1]
	v_pk_add_f16 v56, v56, v59
	v_add_f16_e32 v7, v7, v20
	v_sub_f16_e32 v44, v26, v14
	v_pk_mul_f16 v54, 0x394eb3a8, v37 op_sel_hi:[1,0]
	v_pk_fma_f16 v61, 0xb5ac2fb7, v10, v53 op_sel_hi:[1,0,1]
	v_pk_fma_f16 v59, 0xb9fdb5ac, v40, v50 op_sel_hi:[1,0,1]
	v_pk_add_f16 v35, v56, v35
	v_add_f16_e32 v7, v7, v21
	v_add_f16_e32 v42, v21, v24
	v_pk_mul_f16 v51, 0x3bf1b94e, v44 op_sel_hi:[1,0]
	v_pk_mul_f16 v55, 0x37703b7b, v39 op_sel_hi:[1,0]
	v_pk_fma_f16 v62, 0xb9fdbbc4, v36, v54 op_sel_hi:[1,0,1]
	v_pk_add_f16 v61, v27, v61 op_sel_hi:[0,1]
	v_pk_add_f16 v35, v35, v59
	v_pk_mul_f16 v37, 0x37703bf1, v37 op_sel_hi:[1,0]
	v_pk_fma_f16 v59, 0xbbc4b9fd, v10, v60 op_sel_hi:[1,0,1]
	v_pk_fma_f16 v60, 0xbbc4b9fd, v10, v60 op_sel_hi:[1,0,1] neg_lo:[0,0,1] neg_hi:[0,0,1]
	v_pk_fma_f16 v53, 0xb5ac2fb7, v10, v53 op_sel_hi:[1,0,1] neg_lo:[0,0,1] neg_hi:[0,0,1]
	;; [unrolled: 1-line block ×3, first 2 shown]
	v_add_f16_e32 v7, v7, v22
	v_pk_mul_f16 v57, 0xbbf13770, v41 op_sel_hi:[1,0]
	v_pk_fma_f16 v56, 0x2fb7b9fd, v42, v51 op_sel_hi:[1,0,1]
	v_pk_fma_f16 v63, 0x3b15b5ac, v38, v55 op_sel_hi:[1,0,1]
	v_pk_add_f16 v61, v61, v62
	v_pk_fma_f16 v62, 0x3b152fb7, v36, v37 op_sel_hi:[1,0,1]
	v_pk_mul_f16 v39, 0xb94eba95, v39 op_sel_hi:[1,0]
	v_pk_add_f16 v47, v27, v60 op_sel_hi:[0,1]
	v_pk_fma_f16 v37, 0x3b152fb7, v36, v37 op_sel_hi:[1,0,1] neg_lo:[0,0,1] neg_hi:[0,0,1]
	v_pk_add_f16 v59, v27, v59 op_sel_hi:[0,1]
	v_pk_add_f16 v53, v27, v53 op_sel_hi:[0,1]
	v_pk_fma_f16 v54, 0xb9fdbbc4, v36, v54 op_sel_hi:[1,0,1] neg_lo:[0,0,1] neg_hi:[0,0,1]
	v_pk_add_f16 v10, v27, v10 op_sel_hi:[0,1]
	v_pk_fma_f16 v27, 0xb5ac388b, v36, v48 op_sel_hi:[1,0,1] neg_lo:[0,0,1] neg_hi:[0,0,1]
	v_add_f16_e32 v7, v7, v23
	v_pk_mul_f16 v58, 0x33a8ba95, v44 op_sel_hi:[1,0]
	v_pk_add_f16 v61, v61, v63
	v_pk_add_f16 v35, v35, v56
	v_pk_fma_f16 v56, 0x2fb73b15, v40, v57 op_sel_hi:[1,0,1]
	v_pk_mul_f16 v41, 0x3a9533a8, v41 op_sel_hi:[1,0]
	v_pk_add_f16 v36, v47, v37
	v_pk_fma_f16 v37, 0xb9fd388b, v38, v39 op_sel_hi:[1,0,1] neg_lo:[0,0,1] neg_hi:[0,0,1]
	v_pk_add_f16 v59, v59, v62
	v_pk_fma_f16 v62, 0xb9fd388b, v38, v39 op_sel_hi:[1,0,1]
	v_pk_add_f16 v39, v53, v54
	v_pk_fma_f16 v47, 0x3b15b5ac, v38, v55 op_sel_hi:[1,0,1] neg_lo:[0,0,1] neg_hi:[0,0,1]
	v_pk_add_f16 v10, v10, v27
	v_pk_fma_f16 v27, 0xbbc42fb7, v38, v49 op_sel_hi:[1,0,1] neg_lo:[0,0,1] neg_hi:[0,0,1]
	v_add_f16_e32 v7, v24, v7
	v_sub_f16_e32 v46, v18, v15
	v_pk_add_f16 v56, v61, v56
	v_pk_fma_f16 v61, 0xbbc4388b, v42, v58 op_sel_hi:[1,0,1]
	v_pk_mul_f16 v44, 0xbb7b3770, v44 op_sel_hi:[1,0]
	v_pk_add_f16 v36, v36, v37
	v_pk_fma_f16 v37, 0x388bbbc4, v40, v41 op_sel_hi:[1,0,1] neg_lo:[0,0,1] neg_hi:[0,0,1]
	v_pk_add_f16 v38, v39, v47
	v_pk_fma_f16 v39, 0x2fb73b15, v40, v57 op_sel_hi:[1,0,1] neg_lo:[0,0,1] neg_hi:[0,0,1]
	;; [unrolled: 2-line block ×3, first 2 shown]
	v_add_f16_e32 v7, v25, v7
	v_add_f16_e32 v45, v22, v23
	v_pk_mul_f16 v52, 0x3770b3a8, v46 op_sel_hi:[1,0]
	v_pk_mul_f16 v64, 0x3a95b94e, v46 op_sel_hi:[1,0]
	v_pk_add_f16 v56, v56, v61
	v_pk_add_f16 v59, v59, v62
	v_pk_fma_f16 v61, 0x388bbbc4, v40, v41 op_sel_hi:[1,0,1]
	v_pk_mul_f16 v46, 0x3bf1bb7b, v46 op_sel_hi:[1,0]
	v_pk_add_f16 v36, v36, v37
	v_pk_fma_f16 v37, 0xb5ac3b15, v42, v44 op_sel_hi:[1,0,1] neg_lo:[0,0,1] neg_hi:[0,0,1]
	v_pk_add_f16 v38, v38, v39
	v_pk_fma_f16 v39, 0xbbc4388b, v42, v58 op_sel_hi:[1,0,1] neg_lo:[0,0,1] neg_hi:[0,0,1]
	;; [unrolled: 2-line block ×3, first 2 shown]
	v_add_f16_e32 v7, v28, v7
	v_pk_add_f16 v59, v59, v61
	v_pk_fma_f16 v61, 0xb5ac3b15, v42, v44 op_sel_hi:[1,0,1]
	v_pk_add_f16 v36, v36, v37
	v_pk_fma_f16 v37, 0x2fb7b5ac, v45, v46 op_sel_hi:[1,0,1] neg_lo:[0,0,1] neg_hi:[0,0,1]
	v_pk_add_f16 v38, v38, v39
	v_pk_fma_f16 v39, 0x388bb9fd, v45, v64 op_sel_hi:[1,0,1] neg_lo:[0,0,1] neg_hi:[0,0,1]
	;; [unrolled: 2-line block ×3, first 2 shown]
	v_mul_u32_u24_e32 v43, 26, v5
	v_add_f16_e32 v7, v30, v7
	v_pk_fma_f16 v63, 0x3b15bbc4, v45, v52 op_sel_hi:[1,0,1]
	v_pk_fma_f16 v62, 0x388bb9fd, v45, v64 op_sel_hi:[1,0,1]
	v_pk_add_f16 v40, v59, v61
	v_pk_fma_f16 v41, 0x2fb7b5ac, v45, v46 op_sel_hi:[1,0,1]
	v_pk_add_f16 v42, v36, v37
	v_pk_add_f16 v39, v38, v39
	;; [unrolled: 1-line block ×3, first 2 shown]
	v_add3_u32 v43, 0, v43, v9
	v_add_f16_e32 v7, v33, v7
	v_pk_add_f16 v35, v35, v63
	v_pk_add_f16 v36, v56, v62
	;; [unrolled: 1-line block ×3, first 2 shown]
	v_alignbit_b32 v38, v42, v42, 16
	v_alignbit_b32 v39, v39, v39, 16
	;; [unrolled: 1-line block ×3, first 2 shown]
	ds_store_b16 v43, v7
	ds_store_b128 v43, v[35:38] offset:2
	ds_store_b64 v43, v[39:40] offset:18
.LBB0_14:
	s_wait_alu 0xfffe
	s_or_b32 exec_lo, exec_lo, s1
	v_lshlrev_b32_e32 v7, 1, v5
	global_wb scope:SCOPE_SE
	s_wait_dscnt 0x0
	s_barrier_signal -1
	s_barrier_wait -1
	global_inv scope:SCOPE_SE
	v_add_nc_u32_e32 v38, 0, v7
	v_add3_u32 v36, 0, v9, v7
	s_delay_alu instid0(VALU_DEP_2)
	v_add_nc_u32_e32 v37, v38, v9
	ds_load_u16 v10, v36
	ds_load_u16 v27, v37 offset:26
	ds_load_u16 v35, v37 offset:52
	global_wb scope:SCOPE_SE
	s_wait_dscnt 0x0
	s_barrier_signal -1
	s_barrier_wait -1
	global_inv scope:SCOPE_SE
	s_and_saveexec_b32 s1, s0
	s_cbranch_execz .LBB0_16
; %bb.15:
	v_add_f16_e32 v39, v8, v34
	v_sub_f16_e32 v17, v17, v30
	v_sub_f16_e32 v20, v20, v25
	;; [unrolled: 1-line block ×4, first 2 shown]
	v_add_f16_e32 v30, v39, v32
	v_sub_f16_e32 v21, v21, v24
	v_add_f16_e32 v24, v18, v15
	v_add_f16_e32 v34, v34, v0
	;; [unrolled: 1-line block ×4, first 2 shown]
	v_sub_f16_e32 v19, v19, v28
	v_add_f16_e32 v28, v29, v13
	v_add_f16_e32 v30, v26, v14
	;; [unrolled: 1-line block ×4, first 2 shown]
	v_pk_mul_f16 v25, 0xba95b770, v16 op_sel_hi:[1,0]
	v_pk_mul_f16 v29, 0xbb7bba95, v17 op_sel_hi:[1,0]
	;; [unrolled: 1-line block ×4, first 2 shown]
	v_add_f16_e32 v23, v23, v26
	v_pk_mul_f16 v26, 0x3bf1b94e, v21 op_sel_hi:[1,0]
	v_pk_fma_f16 v44, 0xb5ac388b, v33, v29 op_sel_hi:[1,0,1] neg_lo:[0,0,1] neg_hi:[0,0,1]
	v_pk_fma_f16 v29, 0xb5ac388b, v33, v29 op_sel_hi:[1,0,1]
	v_pk_fma_f16 v45, 0xbbc42fb7, v32, v31 op_sel_hi:[1,0,1] neg_lo:[0,0,1] neg_hi:[0,0,1]
	v_add_f16_e32 v18, v23, v18
	v_pk_fma_f16 v31, 0xbbc42fb7, v32, v31 op_sel_hi:[1,0,1]
	v_pk_fma_f16 v43, 0x388b3b15, v34, v25 op_sel_hi:[1,0,1] neg_lo:[0,0,1] neg_hi:[0,0,1]
	v_pk_mul_f16 v40, 0x3770b3a8, v22 op_sel_hi:[1,0]
	v_pk_mul_f16 v41, 0xbb7bbbf1, v16 op_sel_hi:[1,0]
	v_add_f16_e32 v15, v18, v15
	v_pk_mul_f16 v42, 0x394eb3a8, v17 op_sel_hi:[1,0]
	v_pk_add_f16 v43, v8, v43 op_sel_hi:[0,1]
	v_pk_fma_f16 v46, 0x2fb7b9fd, v30, v26 op_sel_hi:[1,0,1] neg_lo:[0,0,1] neg_hi:[0,0,1]
	v_pk_mul_f16 v23, 0x37703b7b, v19 op_sel_hi:[1,0]
	v_add_f16_e32 v14, v14, v15
	v_pk_fma_f16 v15, 0x388b3b15, v34, v25 op_sel_hi:[1,0,1]
	v_pk_add_f16 v25, v43, v44
	v_pk_fma_f16 v18, 0xb9fdb5ac, v28, v39 op_sel_hi:[1,0,1] neg_lo:[0,0,1] neg_hi:[0,0,1]
	v_pk_mul_f16 v17, 0x37703bf1, v17 op_sel_hi:[1,0]
	v_add_f16_e32 v13, v13, v14
	v_pk_add_f16 v15, v8, v15 op_sel_hi:[0,1]
	v_pk_fma_f16 v14, 0xb9fdb5ac, v28, v39 op_sel_hi:[1,0,1]
	v_pk_add_f16 v25, v25, v45
	v_pk_fma_f16 v39, 0xb5ac2fb7, v34, v41 op_sel_hi:[1,0,1] neg_lo:[0,0,1] neg_hi:[0,0,1]
	v_add_f16_e32 v12, v12, v13
	v_pk_add_f16 v15, v15, v29
	v_pk_fma_f16 v29, 0xb9fdbbc4, v33, v42 op_sel_hi:[1,0,1]
	v_pk_fma_f16 v13, 0xb9fdbbc4, v33, v42 op_sel_hi:[1,0,1] neg_lo:[0,0,1] neg_hi:[0,0,1]
	v_pk_add_f16 v18, v25, v18
	v_pk_add_f16 v25, v8, v39 op_sel_hi:[0,1]
	v_pk_add_f16 v15, v15, v31
	v_add_f16_e32 v11, v11, v12
	v_pk_fma_f16 v12, 0x3b15b5ac, v32, v23 op_sel_hi:[1,0,1] neg_lo:[0,0,1] neg_hi:[0,0,1]
	v_pk_fma_f16 v23, 0x3b15b5ac, v32, v23 op_sel_hi:[1,0,1]
	v_pk_add_f16 v13, v25, v13
	v_pk_add_f16 v14, v15, v14
	v_pk_fma_f16 v15, 0x2fb7b9fd, v30, v26 op_sel_hi:[1,0,1]
	v_pk_fma_f16 v26, 0xb5ac2fb7, v34, v41 op_sel_hi:[1,0,1]
	v_pk_mul_f16 v25, 0xbbf13770, v20 op_sel_hi:[1,0]
	v_pk_mul_f16 v19, 0xb94eba95, v19 op_sel_hi:[1,0]
	v_pk_fma_f16 v47, 0x3b15bbc4, v24, v40 op_sel_hi:[1,0,1] neg_lo:[0,0,1] neg_hi:[0,0,1]
	v_pk_add_f16 v14, v14, v15
	v_pk_fma_f16 v15, 0x3b15bbc4, v24, v40 op_sel_hi:[1,0,1]
	v_pk_add_f16 v26, v8, v26 op_sel_hi:[0,1]
	v_pk_add_f16 v18, v18, v46
	v_pk_add_f16 v12, v13, v12
	v_pk_fma_f16 v13, 0x2fb73b15, v28, v25 op_sel_hi:[1,0,1] neg_lo:[0,0,1] neg_hi:[0,0,1]
	v_pk_add_f16 v15, v14, v15
	v_pk_mul_f16 v14, 0xb3a8b94e, v16 op_sel_hi:[1,0]
	v_pk_add_f16 v16, v26, v29
	v_pk_mul_f16 v20, 0x3a9533a8, v20 op_sel_hi:[1,0]
	v_add_f16_e32 v0, v0, v11
	v_pk_add_f16 v11, v18, v47
	v_pk_fma_f16 v26, 0xbbc4b9fd, v34, v14 op_sel_hi:[1,0,1]
	v_pk_fma_f16 v14, 0xbbc4b9fd, v34, v14 op_sel_hi:[1,0,1] neg_lo:[0,0,1] neg_hi:[0,0,1]
	v_pk_add_f16 v16, v16, v23
	v_pk_mul_f16 v18, 0x33a8ba95, v21 op_sel_hi:[1,0]
	v_pk_mul_f16 v21, 0xbb7b3770, v21 op_sel_hi:[1,0]
	v_pk_add_f16 v23, v8, v26 op_sel_hi:[0,1]
	v_pk_fma_f16 v26, 0x3b152fb7, v33, v17 op_sel_hi:[1,0,1]
	v_pk_add_f16 v8, v8, v14 op_sel_hi:[0,1]
	v_pk_fma_f16 v14, 0x3b152fb7, v33, v17 op_sel_hi:[1,0,1] neg_lo:[0,0,1] neg_hi:[0,0,1]
	v_pk_fma_f16 v17, 0x2fb73b15, v28, v25 op_sel_hi:[1,0,1]
	v_pk_fma_f16 v25, 0xb9fd388b, v32, v19 op_sel_hi:[1,0,1]
	v_pk_add_f16 v23, v23, v26
	v_pk_add_f16 v12, v12, v13
	;; [unrolled: 1-line block ×3, first 2 shown]
	v_pk_fma_f16 v14, 0xb9fd388b, v32, v19 op_sel_hi:[1,0,1] neg_lo:[0,0,1] neg_hi:[0,0,1]
	v_pk_add_f16 v16, v16, v17
	v_pk_add_f16 v17, v23, v25
	v_pk_fma_f16 v19, 0x388bbbc4, v28, v20 op_sel_hi:[1,0,1]
	v_pk_fma_f16 v13, 0xbbc4388b, v30, v18 op_sel_hi:[1,0,1] neg_lo:[0,0,1] neg_hi:[0,0,1]
	v_pk_add_f16 v8, v8, v14
	v_pk_fma_f16 v14, 0x388bbbc4, v28, v20 op_sel_hi:[1,0,1] neg_lo:[0,0,1] neg_hi:[0,0,1]
	v_pk_fma_f16 v18, 0xbbc4388b, v30, v18 op_sel_hi:[1,0,1]
	v_pk_add_f16 v17, v17, v19
	v_pk_fma_f16 v19, 0xb5ac3b15, v30, v21 op_sel_hi:[1,0,1]
	v_pk_mul_f16 v20, 0x3bf1bb7b, v22 op_sel_hi:[1,0]
	v_pk_add_f16 v12, v12, v13
	v_pk_mul_f16 v13, 0x3a95b94e, v22 op_sel_hi:[1,0]
	v_pk_add_f16 v8, v8, v14
	v_pk_fma_f16 v14, 0xb5ac3b15, v30, v21 op_sel_hi:[1,0,1] neg_lo:[0,0,1] neg_hi:[0,0,1]
	v_pk_add_f16 v16, v16, v18
	v_pk_add_f16 v17, v17, v19
	v_pk_fma_f16 v18, 0x2fb7b5ac, v24, v20 op_sel_hi:[1,0,1]
	v_pk_fma_f16 v29, 0x388bb9fd, v24, v13 op_sel_hi:[1,0,1] neg_lo:[0,0,1] neg_hi:[0,0,1]
	v_pk_fma_f16 v13, 0x388bb9fd, v24, v13 op_sel_hi:[1,0,1]
	v_mul_u32_u24_e32 v5, 24, v5
	v_pk_add_f16 v8, v8, v14
	v_pk_fma_f16 v14, 0x2fb7b5ac, v24, v20 op_sel_hi:[1,0,1] neg_lo:[0,0,1] neg_hi:[0,0,1]
	v_pk_add_f16 v17, v17, v18
	v_pk_add_f16 v16, v16, v13
	v_add3_u32 v5, v38, v5, v9
	v_pk_add_f16 v12, v12, v29
	v_pk_add_f16 v13, v8, v14
	v_alignbit_b32 v14, v17, v17, 16
	v_alignbit_b32 v8, v16, v16, 16
	;; [unrolled: 1-line block ×3, first 2 shown]
	ds_store_b16 v5, v0
	ds_store_b128 v5, v[11:14] offset:2
	ds_store_b64 v5, v[8:9] offset:18
.LBB0_16:
	s_wait_alu 0xfffe
	s_or_b32 exec_lo, exec_lo, s1
	global_wb scope:SCOPE_SE
	s_wait_dscnt 0x0
	s_barrier_signal -1
	s_barrier_wait -1
	global_inv scope:SCOPE_SE
	s_and_saveexec_b32 s0, vcc_lo
	s_cbranch_execz .LBB0_18
; %bb.17:
	v_mov_b32_e32 v8, 0
	v_mul_lo_u32 v5, s3, v3
	v_mul_lo_u32 v14, s2, v4
	v_mad_co_u64_u32 v[3:4], null, s2, v3, 0
	s_delay_alu instid0(VALU_DEP_4) | instskip(SKIP_2) | instid1(VALU_DEP_4)
	v_lshlrev_b64_e32 v[11:12], 2, v[7:8]
	v_mov_b32_e32 v7, v8
	v_lshlrev_b64_e32 v[0:1], 2, v[1:2]
	v_add3_u32 v4, v4, v14, v5
	s_delay_alu instid0(VALU_DEP_4)
	v_add_co_u32 v11, vcc_lo, s8, v11
	s_wait_alu 0xfffd
	v_add_co_ci_u32_e32 v12, vcc_lo, s9, v12, vcc_lo
	v_lshlrev_b64_e32 v[5:6], 2, v[6:7]
	v_lshlrev_b64_e32 v[2:3], 2, v[3:4]
	global_load_b64 v[11:12], v[11:12], off
	ds_load_u16 v9, v37 offset:26
	ds_load_u16 v13, v37 offset:52
	ds_load_u16 v15, v36
	v_add_co_u32 v2, vcc_lo, s6, v2
	s_wait_alu 0xfffd
	v_add_co_ci_u32_e32 v3, vcc_lo, s7, v3, vcc_lo
	s_delay_alu instid0(VALU_DEP_2) | instskip(SKIP_1) | instid1(VALU_DEP_2)
	v_add_co_u32 v0, vcc_lo, v2, v0
	s_wait_alu 0xfffd
	v_add_co_ci_u32_e32 v1, vcc_lo, v3, v1, vcc_lo
	s_delay_alu instid0(VALU_DEP_2) | instskip(SKIP_1) | instid1(VALU_DEP_2)
	v_add_co_u32 v0, vcc_lo, v0, v5
	s_wait_alu 0xfffd
	v_add_co_ci_u32_e32 v1, vcc_lo, v1, v6, vcc_lo
	s_wait_loadcnt 0x0
	v_lshrrev_b32_e32 v8, 16, v11
	v_lshrrev_b32_e32 v16, 16, v12
	s_delay_alu instid0(VALU_DEP_2) | instskip(NEXT) | instid1(VALU_DEP_2)
	v_mul_f16_e32 v7, v27, v8
	v_mul_f16_e32 v14, v35, v16
	s_wait_dscnt 0x2
	v_mul_f16_e32 v8, v9, v8
	s_wait_dscnt 0x1
	v_mul_f16_e32 v16, v13, v16
	v_fma_f16 v4, v9, v11, -v7
	v_fma_f16 v7, v13, v12, -v14
	v_fmac_f16_e32 v8, v27, v11
	s_delay_alu instid0(VALU_DEP_4) | instskip(NEXT) | instid1(VALU_DEP_3)
	v_fmac_f16_e32 v16, v35, v12
	v_add_f16_e32 v9, v4, v7
	v_sub_f16_e32 v13, v4, v7
	s_delay_alu instid0(VALU_DEP_3)
	v_add_f16_e32 v12, v8, v16
	v_sub_f16_e32 v11, v8, v16
	s_wait_dscnt 0x0
	v_add_f16_e32 v4, v15, v4
	v_add_f16_e32 v8, v10, v8
	v_fma_f16 v9, -0.5, v9, v15
	v_fma_f16 v10, -0.5, v12, v10
	s_delay_alu instid0(VALU_DEP_4) | instskip(NEXT) | instid1(VALU_DEP_4)
	v_add_f16_e32 v2, v4, v7
	v_add_f16_e32 v3, v8, v16
	s_delay_alu instid0(VALU_DEP_4) | instskip(NEXT) | instid1(VALU_DEP_4)
	v_fmamk_f16 v4, v11, 0xbaee, v9
	v_fmamk_f16 v7, v13, 0x3aee, v10
	v_fmac_f16_e32 v9, 0x3aee, v11
	v_fmac_f16_e32 v10, 0xbaee, v13
	v_pack_b32_f16 v2, v3, v2
	s_delay_alu instid0(VALU_DEP_4) | instskip(NEXT) | instid1(VALU_DEP_3)
	v_pack_b32_f16 v4, v7, v4
	v_pack_b32_f16 v3, v10, v9
	s_clause 0x2
	global_store_b32 v[0:1], v2, off
	global_store_b32 v[0:1], v3, off offset:52
	global_store_b32 v[0:1], v4, off offset:104
.LBB0_18:
	s_nop 0
	s_sendmsg sendmsg(MSG_DEALLOC_VGPRS)
	s_endpgm
	.section	.rodata,"a",@progbits
	.p2align	6, 0x0
	.amdhsa_kernel fft_rtc_back_len39_factors_13_3_wgs_247_tpt_13_halfLds_half_op_CI_CI_unitstride_sbrr_dirReg
		.amdhsa_group_segment_fixed_size 0
		.amdhsa_private_segment_fixed_size 0
		.amdhsa_kernarg_size 104
		.amdhsa_user_sgpr_count 2
		.amdhsa_user_sgpr_dispatch_ptr 0
		.amdhsa_user_sgpr_queue_ptr 0
		.amdhsa_user_sgpr_kernarg_segment_ptr 1
		.amdhsa_user_sgpr_dispatch_id 0
		.amdhsa_user_sgpr_private_segment_size 0
		.amdhsa_wavefront_size32 1
		.amdhsa_uses_dynamic_stack 0
		.amdhsa_enable_private_segment 0
		.amdhsa_system_sgpr_workgroup_id_x 1
		.amdhsa_system_sgpr_workgroup_id_y 0
		.amdhsa_system_sgpr_workgroup_id_z 0
		.amdhsa_system_sgpr_workgroup_info 0
		.amdhsa_system_vgpr_workitem_id 0
		.amdhsa_next_free_vgpr 65
		.amdhsa_next_free_sgpr 39
		.amdhsa_reserve_vcc 1
		.amdhsa_float_round_mode_32 0
		.amdhsa_float_round_mode_16_64 0
		.amdhsa_float_denorm_mode_32 3
		.amdhsa_float_denorm_mode_16_64 3
		.amdhsa_fp16_overflow 0
		.amdhsa_workgroup_processor_mode 1
		.amdhsa_memory_ordered 1
		.amdhsa_forward_progress 0
		.amdhsa_round_robin_scheduling 0
		.amdhsa_exception_fp_ieee_invalid_op 0
		.amdhsa_exception_fp_denorm_src 0
		.amdhsa_exception_fp_ieee_div_zero 0
		.amdhsa_exception_fp_ieee_overflow 0
		.amdhsa_exception_fp_ieee_underflow 0
		.amdhsa_exception_fp_ieee_inexact 0
		.amdhsa_exception_int_div_zero 0
	.end_amdhsa_kernel
	.text
.Lfunc_end0:
	.size	fft_rtc_back_len39_factors_13_3_wgs_247_tpt_13_halfLds_half_op_CI_CI_unitstride_sbrr_dirReg, .Lfunc_end0-fft_rtc_back_len39_factors_13_3_wgs_247_tpt_13_halfLds_half_op_CI_CI_unitstride_sbrr_dirReg
                                        ; -- End function
	.section	.AMDGPU.csdata,"",@progbits
; Kernel info:
; codeLenInByte = 4644
; NumSgprs: 41
; NumVgprs: 65
; ScratchSize: 0
; MemoryBound: 0
; FloatMode: 240
; IeeeMode: 1
; LDSByteSize: 0 bytes/workgroup (compile time only)
; SGPRBlocks: 5
; VGPRBlocks: 8
; NumSGPRsForWavesPerEU: 41
; NumVGPRsForWavesPerEU: 65
; Occupancy: 16
; WaveLimiterHint : 1
; COMPUTE_PGM_RSRC2:SCRATCH_EN: 0
; COMPUTE_PGM_RSRC2:USER_SGPR: 2
; COMPUTE_PGM_RSRC2:TRAP_HANDLER: 0
; COMPUTE_PGM_RSRC2:TGID_X_EN: 1
; COMPUTE_PGM_RSRC2:TGID_Y_EN: 0
; COMPUTE_PGM_RSRC2:TGID_Z_EN: 0
; COMPUTE_PGM_RSRC2:TIDIG_COMP_CNT: 0
	.text
	.p2alignl 7, 3214868480
	.fill 96, 4, 3214868480
	.type	__hip_cuid_3ba90742d9f54ed9,@object ; @__hip_cuid_3ba90742d9f54ed9
	.section	.bss,"aw",@nobits
	.globl	__hip_cuid_3ba90742d9f54ed9
__hip_cuid_3ba90742d9f54ed9:
	.byte	0                               ; 0x0
	.size	__hip_cuid_3ba90742d9f54ed9, 1

	.ident	"AMD clang version 19.0.0git (https://github.com/RadeonOpenCompute/llvm-project roc-6.4.0 25133 c7fe45cf4b819c5991fe208aaa96edf142730f1d)"
	.section	".note.GNU-stack","",@progbits
	.addrsig
	.addrsig_sym __hip_cuid_3ba90742d9f54ed9
	.amdgpu_metadata
---
amdhsa.kernels:
  - .args:
      - .actual_access:  read_only
        .address_space:  global
        .offset:         0
        .size:           8
        .value_kind:     global_buffer
      - .offset:         8
        .size:           8
        .value_kind:     by_value
      - .actual_access:  read_only
        .address_space:  global
        .offset:         16
        .size:           8
        .value_kind:     global_buffer
      - .actual_access:  read_only
        .address_space:  global
        .offset:         24
        .size:           8
        .value_kind:     global_buffer
      - .actual_access:  read_only
        .address_space:  global
        .offset:         32
        .size:           8
        .value_kind:     global_buffer
      - .offset:         40
        .size:           8
        .value_kind:     by_value
      - .actual_access:  read_only
        .address_space:  global
        .offset:         48
        .size:           8
        .value_kind:     global_buffer
      - .actual_access:  read_only
        .address_space:  global
        .offset:         56
        .size:           8
        .value_kind:     global_buffer
      - .offset:         64
        .size:           4
        .value_kind:     by_value
      - .actual_access:  read_only
        .address_space:  global
        .offset:         72
        .size:           8
        .value_kind:     global_buffer
      - .actual_access:  read_only
        .address_space:  global
        .offset:         80
        .size:           8
        .value_kind:     global_buffer
      - .actual_access:  read_only
        .address_space:  global
        .offset:         88
        .size:           8
        .value_kind:     global_buffer
      - .actual_access:  write_only
        .address_space:  global
        .offset:         96
        .size:           8
        .value_kind:     global_buffer
    .group_segment_fixed_size: 0
    .kernarg_segment_align: 8
    .kernarg_segment_size: 104
    .language:       OpenCL C
    .language_version:
      - 2
      - 0
    .max_flat_workgroup_size: 247
    .name:           fft_rtc_back_len39_factors_13_3_wgs_247_tpt_13_halfLds_half_op_CI_CI_unitstride_sbrr_dirReg
    .private_segment_fixed_size: 0
    .sgpr_count:     41
    .sgpr_spill_count: 0
    .symbol:         fft_rtc_back_len39_factors_13_3_wgs_247_tpt_13_halfLds_half_op_CI_CI_unitstride_sbrr_dirReg.kd
    .uniform_work_group_size: 1
    .uses_dynamic_stack: false
    .vgpr_count:     65
    .vgpr_spill_count: 0
    .wavefront_size: 32
    .workgroup_processor_mode: 1
amdhsa.target:   amdgcn-amd-amdhsa--gfx1201
amdhsa.version:
  - 1
  - 2
...

	.end_amdgpu_metadata
